;; amdgpu-corpus repo=ROCm/rocFFT kind=compiled arch=gfx1201 opt=O3
	.text
	.amdgcn_target "amdgcn-amd-amdhsa--gfx1201"
	.amdhsa_code_object_version 6
	.protected	fft_rtc_back_len64_factors_8_8_wgs_64_tpt_8_halfLds_dim1_sp_op_CI_CI_unitstride_sbrr_R2C_dirReg ; -- Begin function fft_rtc_back_len64_factors_8_8_wgs_64_tpt_8_halfLds_dim1_sp_op_CI_CI_unitstride_sbrr_R2C_dirReg
	.globl	fft_rtc_back_len64_factors_8_8_wgs_64_tpt_8_halfLds_dim1_sp_op_CI_CI_unitstride_sbrr_R2C_dirReg
	.p2align	8
	.type	fft_rtc_back_len64_factors_8_8_wgs_64_tpt_8_halfLds_dim1_sp_op_CI_CI_unitstride_sbrr_R2C_dirReg,@function
fft_rtc_back_len64_factors_8_8_wgs_64_tpt_8_halfLds_dim1_sp_op_CI_CI_unitstride_sbrr_R2C_dirReg: ; @fft_rtc_back_len64_factors_8_8_wgs_64_tpt_8_halfLds_dim1_sp_op_CI_CI_unitstride_sbrr_R2C_dirReg
; %bb.0:
	s_clause 0x1
	s_load_b64 s[2:3], s[0:1], 0x20
	s_load_b64 s[4:5], s[0:1], 0x0
	v_lshrrev_b32_e32 v10, 3, v0
	v_dual_mov_b32 v6, 0 :: v_dual_and_b32 v1, 7, v0
                                        ; implicit-def: $vgpr3
                                        ; implicit-def: $vgpr7
                                        ; implicit-def: $vgpr9
                                        ; implicit-def: $vgpr8
                                        ; implicit-def: $vgpr4
                                        ; implicit-def: $vgpr2
	s_delay_alu instid0(VALU_DEP_2) | instskip(SKIP_1) | instid1(VALU_DEP_1)
	v_lshl_or_b32 v5, ttmp9, 3, v10
	s_wait_kmcnt 0x0
	v_cmp_gt_u64_e32 vcc_lo, s[2:3], v[5:6]
	v_cmp_le_u64_e64 s2, s[2:3], v[5:6]
                                        ; implicit-def: $vgpr6
	s_delay_alu instid0(VALU_DEP_1)
	s_and_saveexec_b32 s3, s2
	s_wait_alu 0xfffe
	s_xor_b32 s2, exec_lo, s3
; %bb.1:
	v_and_b32_e32 v1, 7, v0
	s_delay_alu instid0(VALU_DEP_1)
	v_or_b32_e32 v3, 8, v1
	v_or_b32_e32 v7, 16, v1
	;; [unrolled: 1-line block ×7, first 2 shown]
; %bb.2:
	s_wait_alu 0xfffe
	s_or_saveexec_b32 s3, s2
	s_load_b64 s[6:7], s[0:1], 0x18
	v_mul_u32_u24_e32 v0, 0x41, v10
	s_delay_alu instid0(VALU_DEP_1)
	v_lshlrev_b32_e32 v10, 3, v0
	s_xor_b32 exec_lo, exec_lo, s3
	s_cbranch_execz .LBB0_4
; %bb.3:
	s_clause 0x1
	s_load_b64 s[8:9], s[0:1], 0x10
	s_load_b64 s[10:11], s[0:1], 0x50
	v_or_b32_e32 v7, 16, v1
	v_or_b32_e32 v6, 24, v1
	;; [unrolled: 1-line block ×4, first 2 shown]
	s_wait_kmcnt 0x0
	s_load_b64 s[8:9], s[8:9], 0x8
	s_wait_kmcnt 0x0
	v_mad_co_u64_u32 v[2:3], null, s8, v5, 0
	s_delay_alu instid0(VALU_DEP_1) | instskip(NEXT) | instid1(VALU_DEP_1)
	v_mov_b32_e32 v0, v3
	v_mad_co_u64_u32 v[3:4], null, s9, v5, v[0:1]
	v_lshlrev_b32_e32 v0, 3, v1
	v_or_b32_e32 v4, 48, v1
	s_delay_alu instid0(VALU_DEP_3) | instskip(NEXT) | instid1(VALU_DEP_1)
	v_lshlrev_b64_e32 v[2:3], 3, v[2:3]
	v_add_co_u32 v2, s2, s10, v2
	s_wait_alu 0xf1ff
	s_delay_alu instid0(VALU_DEP_2) | instskip(NEXT) | instid1(VALU_DEP_2)
	v_add_co_ci_u32_e64 v3, s2, s11, v3, s2
	v_add_co_u32 v2, s2, v2, v0
	s_wait_alu 0xf1ff
	s_delay_alu instid0(VALU_DEP_2)
	v_add_co_ci_u32_e64 v3, s2, 0, v3, s2
	v_add3_u32 v0, 0, v10, v0
	s_clause 0x7
	global_load_b64 v[11:12], v[2:3], off
	global_load_b64 v[13:14], v[2:3], off offset:64
	global_load_b64 v[15:16], v[2:3], off offset:128
	;; [unrolled: 1-line block ×7, first 2 shown]
	v_or_b32_e32 v3, 8, v1
	v_or_b32_e32 v2, 56, v1
	s_wait_loadcnt 0x6
	ds_store_2addr_b64 v0, v[11:12], v[13:14] offset1:8
	s_wait_loadcnt 0x4
	ds_store_2addr_b64 v0, v[15:16], v[17:18] offset0:16 offset1:24
	s_wait_loadcnt 0x2
	ds_store_2addr_b64 v0, v[19:20], v[21:22] offset0:32 offset1:40
	;; [unrolled: 2-line block ×3, first 2 shown]
.LBB0_4:
	s_or_b32 exec_lo, exec_lo, s3
	v_lshlrev_b32_e32 v44, 3, v1
	v_add_nc_u32_e32 v0, 0, v10
	s_wait_kmcnt 0x0
	s_load_b64 s[6:7], s[6:7], 0x8
	global_wb scope:SCOPE_SE
	s_wait_dscnt 0x0
	s_wait_kmcnt 0x0
	s_barrier_signal -1
	v_add3_u32 v45, 0, v44, v10
	v_add_nc_u32_e32 v10, v0, v44
	s_barrier_wait -1
	global_inv scope:SCOPE_SE
	s_mov_b32 s3, exec_lo
	ds_load_2addr_b64 v[11:14], v45 offset0:24 offset1:32
	ds_load_b64 v[23:24], v10
	ds_load_2addr_b64 v[15:18], v45 offset0:8 offset1:16
	ds_load_2addr_b64 v[19:22], v45 offset0:40 offset1:48
	ds_load_b64 v[25:26], v45 offset:448
	global_wb scope:SCOPE_SE
	s_wait_dscnt 0x0
	s_barrier_signal -1
	s_barrier_wait -1
	global_inv scope:SCOPE_SE
	v_dual_sub_f32 v13, v23, v13 :: v_dual_sub_f32 v14, v24, v14
	v_sub_f32_e32 v21, v17, v21
	v_sub_f32_e32 v25, v11, v25
	v_dual_sub_f32 v19, v15, v19 :: v_dual_sub_f32 v20, v16, v20
	v_sub_f32_e32 v22, v18, v22
	v_fma_f32 v23, v23, 2.0, -v13
	v_fma_f32 v17, v17, 2.0, -v21
	s_delay_alu instid0(VALU_DEP_4) | instskip(SKIP_2) | instid1(VALU_DEP_4)
	v_fma_f32 v15, v15, 2.0, -v19
	v_fma_f32 v11, v11, 2.0, -v25
	v_sub_f32_e32 v25, v20, v25
	v_dual_sub_f32 v26, v12, v26 :: v_dual_sub_f32 v29, v23, v17
	v_fma_f32 v24, v24, 2.0, -v14
	v_fma_f32 v18, v18, 2.0, -v22
	v_dual_add_f32 v27, v13, v22 :: v_dual_sub_f32 v22, v15, v11
	s_delay_alu instid0(VALU_DEP_4) | instskip(SKIP_1) | instid1(VALU_DEP_4)
	v_fma_f32 v12, v12, 2.0, -v26
	v_fma_f32 v16, v16, 2.0, -v20
	v_sub_f32_e32 v30, v24, v18
	v_fma_f32 v18, v23, 2.0, -v29
	v_fma_f32 v15, v15, 2.0, -v22
	v_add_f32_e32 v26, v19, v26
	v_lshl_add_u32 v46, v9, 3, v0
	v_lshl_add_u32 v47, v8, 3, v0
	;; [unrolled: 1-line block ×3, first 2 shown]
	v_sub_f32_e32 v15, v18, v15
	v_fma_f32 v17, v19, 2.0, -v26
	v_sub_f32_e32 v28, v14, v21
	v_fma_f32 v21, v13, 2.0, -v27
	v_dual_fmamk_f32 v13, v26, 0x3f3504f3, v27 :: v_dual_sub_f32 v32, v16, v12
	v_fma_f32 v19, v24, 2.0, -v30
	v_lshl_add_u32 v2, v2, 3, v0
	s_delay_alu instid0(VALU_DEP_4) | instskip(NEXT) | instid1(VALU_DEP_4)
	v_fmamk_f32 v11, v17, 0xbf3504f3, v21
	v_fmac_f32_e32 v13, 0x3f3504f3, v25
	v_fma_f32 v31, v14, 2.0, -v28
	v_fma_f32 v14, v20, 2.0, -v25
	;; [unrolled: 1-line block ×3, first 2 shown]
	s_delay_alu instid0(VALU_DEP_2) | instskip(SKIP_1) | instid1(VALU_DEP_3)
	v_fmamk_f32 v12, v14, 0xbf3504f3, v31
	v_dual_fmac_f32 v11, 0x3f3504f3, v14 :: v_dual_fmamk_f32 v14, v25, 0x3f3504f3, v28
	v_sub_f32_e32 v16, v19, v16
	v_sub_f32_e32 v22, v30, v22
	s_delay_alu instid0(VALU_DEP_4)
	v_fmac_f32_e32 v12, 0xbf3504f3, v17
	v_fma_f32 v17, v18, 2.0, -v15
	v_fmac_f32_e32 v14, 0xbf3504f3, v26
	v_fma_f32 v18, v19, 2.0, -v16
	v_fma_f32 v19, v21, 2.0, -v11
	v_add_f32_e32 v21, v29, v32
	v_fma_f32 v20, v31, 2.0, -v12
	v_fma_f32 v25, v27, 2.0, -v13
	;; [unrolled: 1-line block ×3, first 2 shown]
	v_mad_u32_u24 v27, v1, 56, v45
	v_mul_u32_u24_e32 v28, 7, v1
	v_fma_f32 v23, v29, 2.0, -v21
	v_fma_f32 v24, v30, 2.0, -v22
	ds_store_2addr_b64 v27, v[17:18], v[19:20] offset1:1
	ds_store_2addr_b64 v27, v[23:24], v[25:26] offset0:2 offset1:3
	ds_store_2addr_b64 v27, v[15:16], v[11:12] offset0:4 offset1:5
	;; [unrolled: 1-line block ×3, first 2 shown]
	v_lshlrev_b32_e32 v11, 3, v28
	global_wb scope:SCOPE_SE
	s_wait_dscnt 0x0
	s_barrier_signal -1
	s_barrier_wait -1
	global_inv scope:SCOPE_SE
	s_clause 0x3
	global_load_b128 v[14:17], v11, s[4:5]
	global_load_b128 v[18:21], v11, s[4:5] offset:16
	global_load_b128 v[22:25], v11, s[4:5] offset:32
	global_load_b64 v[34:35], v11, s[4:5] offset:48
	ds_load_2addr_b64 v[26:29], v45 offset0:8 offset1:16
	ds_load_2addr_b64 v[30:33], v45 offset0:24 offset1:32
	ds_load_b64 v[36:37], v10
	ds_load_b64 v[38:39], v45 offset:320
	ds_load_2addr_b32 v[40:41], v45 offset0:96 offset1:97
	ds_load_b64 v[42:43], v45 offset:448
	v_lshl_add_u32 v13, v3, 3, v0
	v_lshl_add_u32 v12, v7, 3, v0
	;; [unrolled: 1-line block ×3, first 2 shown]
	global_wb scope:SCOPE_SE
	s_wait_loadcnt_dscnt 0x0
	s_barrier_signal -1
	s_barrier_wait -1
	global_inv scope:SCOPE_SE
	v_mul_f32_e32 v8, v15, v27
	v_mul_f32_e32 v9, v15, v26
	;; [unrolled: 1-line block ×5, first 2 shown]
	v_dual_mul_f32 v21, v21, v32 :: v_dual_mul_f32 v48, v19, v31
	v_dual_mul_f32 v51, v41, v25 :: v_dual_mul_f32 v52, v43, v35
	v_dual_fmac_f32 v15, v16, v28 :: v_dual_fmac_f32 v8, v14, v26
	s_delay_alu instid0(VALU_DEP_4)
	v_fmac_f32_e32 v49, v20, v32
	v_fma_f32 v9, v14, v27, -v9
	v_fma_f32 v14, v16, v29, -v17
	;; [unrolled: 1-line block ×3, first 2 shown]
	v_mul_f32_e32 v35, v42, v35
	v_dual_fmac_f32 v48, v18, v30 :: v_dual_fmac_f32 v51, v24, v40
	s_delay_alu instid0(VALU_DEP_3) | instskip(SKIP_4) | instid1(VALU_DEP_4)
	v_dual_fmac_f32 v52, v42, v34 :: v_dual_sub_f32 v17, v37, v17
	v_mul_f32_e32 v19, v19, v30
	v_dual_mul_f32 v50, v23, v39 :: v_dual_mul_f32 v25, v25, v40
	v_fma_f32 v20, v43, v34, -v35
	v_sub_f32_e32 v21, v36, v49
	v_fma_f32 v16, v18, v31, -v19
	v_mul_f32_e32 v23, v23, v38
	v_fmac_f32_e32 v50, v22, v38
	v_fma_f32 v19, v41, v24, -v25
	v_sub_f32_e32 v24, v48, v52
	v_sub_f32_e32 v20, v16, v20
	v_fma_f32 v18, v22, v39, -v23
	v_dual_sub_f32 v22, v15, v51 :: v_dual_sub_f32 v23, v8, v50
	v_sub_f32_e32 v19, v14, v19
	v_fma_f32 v25, v36, 2.0, -v21
	s_delay_alu instid0(VALU_DEP_4) | instskip(NEXT) | instid1(VALU_DEP_4)
	v_sub_f32_e32 v18, v9, v18
	v_sub_f32_e32 v30, v17, v22
	v_fma_f32 v26, v37, 2.0, -v17
	v_fma_f32 v15, v15, 2.0, -v22
	;; [unrolled: 1-line block ×7, first 2 shown]
	v_add_f32_e32 v29, v21, v19
	v_dual_add_f32 v19, v23, v20 :: v_dual_sub_f32 v22, v25, v15
	v_sub_f32_e32 v20, v18, v24
	v_sub_f32_e32 v24, v26, v14
	s_delay_alu instid0(VALU_DEP_4)
	v_fma_f32 v31, v21, 2.0, -v29
	v_fma_f32 v32, v17, 2.0, -v30
	v_sub_f32_e32 v17, v27, v8
	v_fma_f32 v21, v23, 2.0, -v19
	v_fma_f32 v23, v18, 2.0, -v20
	v_sub_f32_e32 v16, v28, v9
	v_dual_fmamk_f32 v8, v19, 0x3f3504f3, v29 :: v_dual_fmamk_f32 v9, v20, 0x3f3504f3, v30
	v_fma_f32 v25, v25, 2.0, -v22
	v_fma_f32 v26, v26, 2.0, -v24
	v_fma_f32 v18, v27, 2.0, -v17
	v_fmamk_f32 v15, v23, 0xbf3504f3, v32
	v_fma_f32 v27, v28, 2.0, -v16
	v_dual_fmamk_f32 v14, v21, 0xbf3504f3, v31 :: v_dual_sub_f32 v17, v24, v17
	v_dual_add_f32 v16, v22, v16 :: v_dual_fmac_f32 v9, 0xbf3504f3, v19
	s_delay_alu instid0(VALU_DEP_3) | instskip(SKIP_1) | instid1(VALU_DEP_4)
	v_dual_fmac_f32 v8, 0x3f3504f3, v20 :: v_dual_sub_f32 v19, v26, v27
	v_dual_sub_f32 v18, v25, v18 :: v_dual_fmac_f32 v15, 0xbf3504f3, v21
	v_fmac_f32_e32 v14, 0x3f3504f3, v23
	s_delay_alu instid0(VALU_DEP_4) | instskip(NEXT) | instid1(VALU_DEP_4)
	v_fma_f32 v20, v22, 2.0, -v16
	v_fma_f32 v23, v26, 2.0, -v19
	s_delay_alu instid0(VALU_DEP_4)
	v_fma_f32 v22, v25, 2.0, -v18
	v_fma_f32 v21, v24, 2.0, -v17
	;; [unrolled: 1-line block ×6, first 2 shown]
	ds_store_b64 v45, v[22:23]
	ds_store_b64 v13, v[24:25]
	;; [unrolled: 1-line block ×8, first 2 shown]
	global_wb scope:SCOPE_SE
	s_wait_dscnt 0x0
	s_barrier_signal -1
	s_barrier_wait -1
	global_inv scope:SCOPE_SE
	ds_load_b64 v[8:9], v10
	v_sub_nc_u32_e32 v14, v0, v44
                                        ; implicit-def: $vgpr15
                                        ; implicit-def: $vgpr2
	v_cmpx_ne_u32_e32 0, v1
	s_wait_alu 0xfffe
	s_xor_b32 s3, exec_lo, s3
	s_cbranch_execz .LBB0_6
; %bb.5:
	ds_load_b64 v[17:18], v14 offset:512
	v_mov_b32_e32 v2, 0
	s_wait_dscnt 0x0
	v_dual_add_f32 v4, v18, v9 :: v_dual_sub_f32 v9, v9, v18
	s_delay_alu instid0(VALU_DEP_2) | instskip(SKIP_2) | instid1(VALU_DEP_2)
	v_lshlrev_b64_e32 v[15:16], 3, v[1:2]
	v_sub_f32_e32 v2, v8, v17
	v_add_f32_e32 v8, v17, v8
	v_mul_f32_e32 v18, 0.5, v2
	s_delay_alu instid0(VALU_DEP_4)
	v_add_co_u32 v15, s2, s4, v15
	s_wait_alu 0xf1ff
	v_add_co_ci_u32_e64 v16, s2, s5, v16, s2
	v_mul_f32_e32 v2, 0.5, v9
	global_load_b64 v[15:16], v[15:16], off offset:448
	s_wait_loadcnt 0x0
	v_dual_mul_f32 v9, v16, v18 :: v_dual_mul_f32 v4, 0.5, v4
	s_delay_alu instid0(VALU_DEP_1) | instskip(SKIP_1) | instid1(VALU_DEP_3)
	v_fma_f32 v17, v4, v16, v2
	v_fma_f32 v16, v4, v16, -v2
	v_fma_f32 v2, 0.5, v8, v9
	v_fma_f32 v8, v8, 0.5, -v9
	s_delay_alu instid0(VALU_DEP_4) | instskip(NEXT) | instid1(VALU_DEP_4)
	v_fma_f32 v9, -v15, v18, v17
	v_fma_f32 v16, -v15, v18, v16
	s_delay_alu instid0(VALU_DEP_4) | instskip(NEXT) | instid1(VALU_DEP_4)
	v_fmac_f32_e32 v2, v15, v4
	v_fma_f32 v15, -v15, v4, v8
	ds_store_b32 v10, v9 offset:4
	ds_store_b32 v14, v16 offset:516
                                        ; implicit-def: $vgpr8_vgpr9
.LBB0_6:
	s_wait_alu 0xfffe
	s_and_not1_saveexec_b32 s2, s3
	s_cbranch_execz .LBB0_8
; %bb.7:
	s_wait_dscnt 0x0
	v_dual_mov_b32 v2, 0 :: v_dual_sub_f32 v15, v8, v9
	ds_store_b32 v10, v2 offset:4
	ds_store_b32 v14, v2 offset:516
	ds_load_b32 v4, v0 offset:260
	v_add_f32_e32 v2, v8, v9
	s_wait_dscnt 0x0
	v_xor_b32_e32 v4, 0x80000000, v4
	ds_store_b32 v0, v4 offset:260
.LBB0_8:
	s_wait_alu 0xfffe
	s_or_b32 exec_lo, exec_lo, s2
	v_mov_b32_e32 v4, 0
	s_wait_dscnt 0x0
	s_delay_alu instid0(VALU_DEP_1) | instskip(NEXT) | instid1(VALU_DEP_1)
	v_lshlrev_b64_e32 v[8:9], 3, v[3:4]
	v_add_co_u32 v8, s2, s4, v8
	s_wait_alu 0xf1ff
	s_delay_alu instid0(VALU_DEP_2) | instskip(SKIP_2) | instid1(VALU_DEP_1)
	v_add_co_ci_u32_e64 v9, s2, s5, v9, s2
	global_load_b64 v[16:17], v[8:9], off offset:448
	v_mov_b32_e32 v8, v4
	v_lshlrev_b64_e32 v[7:8], 3, v[7:8]
	s_delay_alu instid0(VALU_DEP_1) | instskip(SKIP_1) | instid1(VALU_DEP_2)
	v_add_co_u32 v7, s2, s4, v7
	s_wait_alu 0xf1ff
	v_add_co_ci_u32_e64 v8, s2, s5, v8, s2
	global_load_b64 v[8:9], v[7:8], off offset:448
	v_mov_b32_e32 v7, v4
	s_delay_alu instid0(VALU_DEP_1) | instskip(NEXT) | instid1(VALU_DEP_1)
	v_lshlrev_b64_e32 v[6:7], 3, v[6:7]
	v_add_co_u32 v6, s2, s4, v6
	s_wait_alu 0xf1ff
	s_delay_alu instid0(VALU_DEP_2)
	v_add_co_ci_u32_e64 v7, s2, s5, v7, s2
	global_load_b64 v[6:7], v[6:7], off offset:448
	ds_store_b32 v10, v2
	ds_store_b32 v14, v15 offset:512
	ds_load_b64 v[2:3], v13
	ds_load_b64 v[18:19], v14 offset:448
	s_wait_dscnt 0x0
	v_dual_sub_f32 v10, v2, v18 :: v_dual_add_f32 v15, v3, v19
	v_dual_sub_f32 v3, v3, v19 :: v_dual_add_f32 v2, v2, v18
	s_delay_alu instid0(VALU_DEP_2) | instskip(SKIP_1) | instid1(VALU_DEP_1)
	v_dual_mul_f32 v10, 0.5, v10 :: v_dual_mul_f32 v15, 0.5, v15
	s_wait_loadcnt 0x2
	v_dual_mul_f32 v3, 0.5, v3 :: v_dual_mul_f32 v18, v17, v10
	s_delay_alu instid0(VALU_DEP_1) | instskip(SKIP_1) | instid1(VALU_DEP_3)
	v_fma_f32 v19, v15, v17, v3
	v_fma_f32 v3, v15, v17, -v3
	v_fma_f32 v17, 0.5, v2, v18
	s_delay_alu instid0(VALU_DEP_2) | instskip(NEXT) | instid1(VALU_DEP_2)
	v_fma_f32 v3, -v16, v10, v3
	v_fmac_f32_e32 v17, v16, v15
	v_fma_f32 v2, v2, 0.5, -v18
	v_fma_f32 v18, -v16, v10, v19
	s_delay_alu instid0(VALU_DEP_2)
	v_fma_f32 v2, -v16, v15, v2
	ds_store_2addr_b32 v13, v17, v18 offset1:1
	ds_store_b64 v14, v[2:3] offset:448
	ds_load_b64 v[2:3], v12
	ds_load_b64 v[15:16], v14 offset:384
	s_wait_dscnt 0x0
	v_dual_sub_f32 v10, v2, v15 :: v_dual_add_f32 v13, v3, v16
	v_dual_sub_f32 v3, v3, v16 :: v_dual_add_f32 v2, v2, v15
	s_delay_alu instid0(VALU_DEP_2) | instskip(NEXT) | instid1(VALU_DEP_2)
	v_dual_mul_f32 v10, 0.5, v10 :: v_dual_mul_f32 v13, 0.5, v13
	v_mul_f32_e32 v3, 0.5, v3
	s_wait_loadcnt 0x1
	s_delay_alu instid0(VALU_DEP_2) | instskip(NEXT) | instid1(VALU_DEP_2)
	v_mul_f32_e32 v15, v9, v10
	v_fma_f32 v16, v13, v9, v3
	v_fma_f32 v3, v13, v9, -v3
	s_delay_alu instid0(VALU_DEP_3) | instskip(SKIP_1) | instid1(VALU_DEP_4)
	v_fma_f32 v9, 0.5, v2, v15
	v_fma_f32 v2, v2, 0.5, -v15
	v_fma_f32 v15, -v8, v10, v16
	s_delay_alu instid0(VALU_DEP_4) | instskip(NEXT) | instid1(VALU_DEP_4)
	v_fma_f32 v3, -v8, v10, v3
	v_fmac_f32_e32 v9, v8, v13
	s_delay_alu instid0(VALU_DEP_4)
	v_fma_f32 v2, -v8, v13, v2
	ds_store_2addr_b32 v12, v9, v15 offset1:1
	ds_store_b64 v14, v[2:3] offset:384
	ds_load_b64 v[2:3], v11
	ds_load_b64 v[8:9], v14 offset:320
	s_wait_dscnt 0x0
	v_sub_f32_e32 v10, v2, v8
	v_add_f32_e32 v12, v3, v9
	v_dual_sub_f32 v3, v3, v9 :: v_dual_add_f32 v2, v2, v8
	s_delay_alu instid0(VALU_DEP_2) | instskip(SKIP_1) | instid1(VALU_DEP_1)
	v_dual_mul_f32 v9, 0.5, v10 :: v_dual_mul_f32 v10, 0.5, v12
	s_wait_loadcnt 0x0
	v_dual_mul_f32 v3, 0.5, v3 :: v_dual_mul_f32 v8, v7, v9
	s_delay_alu instid0(VALU_DEP_1) | instskip(SKIP_1) | instid1(VALU_DEP_3)
	v_fma_f32 v12, v10, v7, v3
	v_fma_f32 v3, v10, v7, -v3
	v_fma_f32 v7, 0.5, v2, v8
	v_fma_f32 v2, v2, 0.5, -v8
	s_delay_alu instid0(VALU_DEP_4) | instskip(NEXT) | instid1(VALU_DEP_4)
	v_fma_f32 v8, -v6, v9, v12
	v_fma_f32 v3, -v6, v9, v3
	s_delay_alu instid0(VALU_DEP_4) | instskip(NEXT) | instid1(VALU_DEP_4)
	v_fmac_f32_e32 v7, v6, v10
	v_fma_f32 v2, -v6, v10, v2
	ds_store_2addr_b32 v11, v7, v8 offset1:1
	ds_store_b64 v14, v[2:3] offset:320
	global_wb scope:SCOPE_SE
	s_wait_dscnt 0x0
	s_barrier_signal -1
	s_barrier_wait -1
	global_inv scope:SCOPE_SE
	s_and_saveexec_b32 s2, vcc_lo
	s_cbranch_execz .LBB0_11
; %bb.9:
	v_mad_co_u64_u32 v[11:12], null, s6, v5, 0
	s_load_b64 s[0:1], s[0:1], 0x58
	v_lshl_add_u32 v0, v1, 3, v0
	s_delay_alu instid0(VALU_DEP_2) | instskip(SKIP_4) | instid1(VALU_DEP_2)
	v_dual_mov_b32 v2, v12 :: v_dual_add_nc_u32 v3, 8, v1
	ds_load_2addr_b64 v[7:10], v0 offset1:8
	v_lshlrev_b64_e32 v[15:16], 3, v[3:4]
	v_mad_co_u64_u32 v[5:6], null, s7, v5, v[2:3]
	v_dual_mov_b32 v2, v4 :: v_dual_add_nc_u32 v3, 16, v1
	v_mov_b32_e32 v12, v5
	s_delay_alu instid0(VALU_DEP_2) | instskip(SKIP_1) | instid1(VALU_DEP_4)
	v_lshlrev_b64_e32 v[17:18], 3, v[3:4]
	v_add_nc_u32_e32 v3, 24, v1
	v_lshlrev_b64_e32 v[19:20], 3, v[1:2]
	s_delay_alu instid0(VALU_DEP_4)
	v_lshlrev_b64_e32 v[5:6], 3, v[11:12]
	ds_load_2addr_b64 v[11:14], v0 offset0:16 offset1:24
	v_lshlrev_b64_e32 v[21:22], 3, v[3:4]
	v_add_nc_u32_e32 v3, 32, v1
	s_wait_kmcnt 0x0
	v_add_co_u32 v5, vcc_lo, s0, v5
	v_add_co_ci_u32_e32 v6, vcc_lo, s1, v6, vcc_lo
	s_delay_alu instid0(VALU_DEP_3) | instskip(NEXT) | instid1(VALU_DEP_3)
	v_lshlrev_b64_e32 v[23:24], 3, v[3:4]
	v_add_co_u32 v19, vcc_lo, v5, v19
	s_wait_alu 0xfffd
	s_delay_alu instid0(VALU_DEP_3)
	v_add_co_ci_u32_e32 v20, vcc_lo, v6, v20, vcc_lo
	v_add_co_u32 v15, vcc_lo, v5, v15
	s_wait_alu 0xfffd
	v_add_co_ci_u32_e32 v16, vcc_lo, v6, v16, vcc_lo
	v_add_co_u32 v17, vcc_lo, v5, v17
	s_wait_alu 0xfffd
	v_add_co_ci_u32_e32 v18, vcc_lo, v6, v18, vcc_lo
	v_add_nc_u32_e32 v3, 40, v1
	v_add_co_u32 v21, vcc_lo, v5, v21
	s_wait_alu 0xfffd
	v_add_co_ci_u32_e32 v22, vcc_lo, v6, v22, vcc_lo
	s_wait_dscnt 0x1
	s_clause 0x1
	global_store_b64 v[19:20], v[7:8], off
	global_store_b64 v[15:16], v[9:10], off
	s_wait_dscnt 0x0
	s_clause 0x1
	global_store_b64 v[17:18], v[11:12], off
	global_store_b64 v[21:22], v[13:14], off
	v_lshlrev_b64_e32 v[15:16], 3, v[3:4]
	v_add_nc_u32_e32 v3, 48, v1
	ds_load_2addr_b64 v[7:10], v0 offset0:32 offset1:40
	ds_load_2addr_b64 v[11:14], v0 offset0:48 offset1:56
	v_add_co_u32 v17, vcc_lo, v5, v23
	v_lshlrev_b64_e32 v[19:20], 3, v[3:4]
	v_add_nc_u32_e32 v3, 56, v1
	s_wait_alu 0xfffd
	v_add_co_ci_u32_e32 v18, vcc_lo, v6, v24, vcc_lo
	v_add_co_u32 v15, vcc_lo, v5, v15
	s_delay_alu instid0(VALU_DEP_3)
	v_lshlrev_b64_e32 v[2:3], 3, v[3:4]
	s_wait_alu 0xfffd
	v_add_co_ci_u32_e32 v16, vcc_lo, v6, v16, vcc_lo
	v_add_co_u32 v19, vcc_lo, v5, v19
	s_wait_alu 0xfffd
	v_add_co_ci_u32_e32 v20, vcc_lo, v6, v20, vcc_lo
	v_add_co_u32 v2, vcc_lo, v5, v2
	s_wait_alu 0xfffd
	v_add_co_ci_u32_e32 v3, vcc_lo, v6, v3, vcc_lo
	v_cmp_eq_u32_e32 vcc_lo, 7, v1
	s_wait_dscnt 0x1
	s_clause 0x1
	global_store_b64 v[17:18], v[7:8], off
	global_store_b64 v[15:16], v[9:10], off
	s_wait_dscnt 0x0
	s_clause 0x1
	global_store_b64 v[19:20], v[11:12], off
	global_store_b64 v[2:3], v[13:14], off
	s_and_b32 exec_lo, exec_lo, vcc_lo
	s_cbranch_execz .LBB0_11
; %bb.10:
	ds_load_b64 v[0:1], v0 offset:456
	s_wait_dscnt 0x0
	global_store_b64 v[5:6], v[0:1], off offset:512
.LBB0_11:
	s_nop 0
	s_sendmsg sendmsg(MSG_DEALLOC_VGPRS)
	s_endpgm
	.section	.rodata,"a",@progbits
	.p2align	6, 0x0
	.amdhsa_kernel fft_rtc_back_len64_factors_8_8_wgs_64_tpt_8_halfLds_dim1_sp_op_CI_CI_unitstride_sbrr_R2C_dirReg
		.amdhsa_group_segment_fixed_size 0
		.amdhsa_private_segment_fixed_size 0
		.amdhsa_kernarg_size 96
		.amdhsa_user_sgpr_count 2
		.amdhsa_user_sgpr_dispatch_ptr 0
		.amdhsa_user_sgpr_queue_ptr 0
		.amdhsa_user_sgpr_kernarg_segment_ptr 1
		.amdhsa_user_sgpr_dispatch_id 0
		.amdhsa_user_sgpr_private_segment_size 0
		.amdhsa_wavefront_size32 1
		.amdhsa_uses_dynamic_stack 0
		.amdhsa_enable_private_segment 0
		.amdhsa_system_sgpr_workgroup_id_x 1
		.amdhsa_system_sgpr_workgroup_id_y 0
		.amdhsa_system_sgpr_workgroup_id_z 0
		.amdhsa_system_sgpr_workgroup_info 0
		.amdhsa_system_vgpr_workitem_id 0
		.amdhsa_next_free_vgpr 53
		.amdhsa_next_free_sgpr 12
		.amdhsa_reserve_vcc 1
		.amdhsa_float_round_mode_32 0
		.amdhsa_float_round_mode_16_64 0
		.amdhsa_float_denorm_mode_32 3
		.amdhsa_float_denorm_mode_16_64 3
		.amdhsa_fp16_overflow 0
		.amdhsa_workgroup_processor_mode 1
		.amdhsa_memory_ordered 1
		.amdhsa_forward_progress 0
		.amdhsa_round_robin_scheduling 0
		.amdhsa_exception_fp_ieee_invalid_op 0
		.amdhsa_exception_fp_denorm_src 0
		.amdhsa_exception_fp_ieee_div_zero 0
		.amdhsa_exception_fp_ieee_overflow 0
		.amdhsa_exception_fp_ieee_underflow 0
		.amdhsa_exception_fp_ieee_inexact 0
		.amdhsa_exception_int_div_zero 0
	.end_amdhsa_kernel
	.text
.Lfunc_end0:
	.size	fft_rtc_back_len64_factors_8_8_wgs_64_tpt_8_halfLds_dim1_sp_op_CI_CI_unitstride_sbrr_R2C_dirReg, .Lfunc_end0-fft_rtc_back_len64_factors_8_8_wgs_64_tpt_8_halfLds_dim1_sp_op_CI_CI_unitstride_sbrr_R2C_dirReg
                                        ; -- End function
	.section	.AMDGPU.csdata,"",@progbits
; Kernel info:
; codeLenInByte = 3268
; NumSgprs: 14
; NumVgprs: 53
; ScratchSize: 0
; MemoryBound: 0
; FloatMode: 240
; IeeeMode: 1
; LDSByteSize: 0 bytes/workgroup (compile time only)
; SGPRBlocks: 1
; VGPRBlocks: 6
; NumSGPRsForWavesPerEU: 14
; NumVGPRsForWavesPerEU: 53
; Occupancy: 16
; WaveLimiterHint : 1
; COMPUTE_PGM_RSRC2:SCRATCH_EN: 0
; COMPUTE_PGM_RSRC2:USER_SGPR: 2
; COMPUTE_PGM_RSRC2:TRAP_HANDLER: 0
; COMPUTE_PGM_RSRC2:TGID_X_EN: 1
; COMPUTE_PGM_RSRC2:TGID_Y_EN: 0
; COMPUTE_PGM_RSRC2:TGID_Z_EN: 0
; COMPUTE_PGM_RSRC2:TIDIG_COMP_CNT: 0
	.text
	.p2alignl 7, 3214868480
	.fill 96, 4, 3214868480
	.type	__hip_cuid_efcd669da4a4a1b2,@object ; @__hip_cuid_efcd669da4a4a1b2
	.section	.bss,"aw",@nobits
	.globl	__hip_cuid_efcd669da4a4a1b2
__hip_cuid_efcd669da4a4a1b2:
	.byte	0                               ; 0x0
	.size	__hip_cuid_efcd669da4a4a1b2, 1

	.ident	"AMD clang version 19.0.0git (https://github.com/RadeonOpenCompute/llvm-project roc-6.4.0 25133 c7fe45cf4b819c5991fe208aaa96edf142730f1d)"
	.section	".note.GNU-stack","",@progbits
	.addrsig
	.addrsig_sym __hip_cuid_efcd669da4a4a1b2
	.amdgpu_metadata
---
amdhsa.kernels:
  - .args:
      - .actual_access:  read_only
        .address_space:  global
        .offset:         0
        .size:           8
        .value_kind:     global_buffer
      - .actual_access:  read_only
        .address_space:  global
        .offset:         8
        .size:           8
        .value_kind:     global_buffer
      - .actual_access:  read_only
        .address_space:  global
        .offset:         16
        .size:           8
        .value_kind:     global_buffer
      - .actual_access:  read_only
        .address_space:  global
        .offset:         24
        .size:           8
        .value_kind:     global_buffer
      - .offset:         32
        .size:           8
        .value_kind:     by_value
      - .actual_access:  read_only
        .address_space:  global
        .offset:         40
        .size:           8
        .value_kind:     global_buffer
      - .actual_access:  read_only
        .address_space:  global
        .offset:         48
        .size:           8
        .value_kind:     global_buffer
      - .offset:         56
        .size:           4
        .value_kind:     by_value
      - .actual_access:  read_only
        .address_space:  global
        .offset:         64
        .size:           8
        .value_kind:     global_buffer
      - .actual_access:  read_only
        .address_space:  global
        .offset:         72
        .size:           8
        .value_kind:     global_buffer
      - .actual_access:  read_only
        .address_space:  global
        .offset:         80
        .size:           8
        .value_kind:     global_buffer
      - .actual_access:  write_only
        .address_space:  global
        .offset:         88
        .size:           8
        .value_kind:     global_buffer
    .group_segment_fixed_size: 0
    .kernarg_segment_align: 8
    .kernarg_segment_size: 96
    .language:       OpenCL C
    .language_version:
      - 2
      - 0
    .max_flat_workgroup_size: 64
    .name:           fft_rtc_back_len64_factors_8_8_wgs_64_tpt_8_halfLds_dim1_sp_op_CI_CI_unitstride_sbrr_R2C_dirReg
    .private_segment_fixed_size: 0
    .sgpr_count:     14
    .sgpr_spill_count: 0
    .symbol:         fft_rtc_back_len64_factors_8_8_wgs_64_tpt_8_halfLds_dim1_sp_op_CI_CI_unitstride_sbrr_R2C_dirReg.kd
    .uniform_work_group_size: 1
    .uses_dynamic_stack: false
    .vgpr_count:     53
    .vgpr_spill_count: 0
    .wavefront_size: 32
    .workgroup_processor_mode: 1
amdhsa.target:   amdgcn-amd-amdhsa--gfx1201
amdhsa.version:
  - 1
  - 2
...

	.end_amdgpu_metadata
